;; amdgpu-corpus repo=zjin-lcf/HeCBench kind=compiled arch=gfx906 opt=O3
	.amdgcn_target "amdgcn-amd-amdhsa--gfx906"
	.amdhsa_code_object_version 6
	.text
	.protected	_Z19generate_nms_bitmapPK15HIP_vector_typeIfLj4EEPhf ; -- Begin function _Z19generate_nms_bitmapPK15HIP_vector_typeIfLj4EEPhf
	.globl	_Z19generate_nms_bitmapPK15HIP_vector_typeIfLj4EEPhf
	.p2align	8
	.type	_Z19generate_nms_bitmapPK15HIP_vector_typeIfLj4EEPhf,@function
_Z19generate_nms_bitmapPK15HIP_vector_typeIfLj4EEPhf: ; @_Z19generate_nms_bitmapPK15HIP_vector_typeIfLj4EEPhf
; %bb.0:
	s_load_dword s8, s[4:5], 0x24
	s_load_dwordx4 s[0:3], s[4:5], 0x0
	s_waitcnt lgkmcnt(0)
	s_lshr_b32 s9, s8, 16
	s_and_b32 s8, s8, 0xffff
	s_mul_i32 s6, s6, s8
	v_add_u32_e32 v0, s6, v0
	s_mul_i32 s7, s7, s9
	v_add_u32_e32 v2, s7, v1
	v_ashrrev_i32_e32 v1, 31, v0
	v_lshlrev_b64 v[4:5], 4, v[0:1]
	v_ashrrev_i32_e32 v3, 31, v2
	v_mov_b32_e32 v1, s1
	v_add_co_u32_e32 v4, vcc, s0, v4
	v_lshlrev_b64 v[6:7], 4, v[2:3]
	v_addc_co_u32_e32 v5, vcc, v1, v5, vcc
	v_add_co_u32_e32 v6, vcc, s0, v6
	v_addc_co_u32_e32 v7, vcc, v1, v7, vcc
	global_load_dword v1, v[4:5], off offset:12
	global_load_dword v3, v[6:7], off offset:12
	s_waitcnt vmcnt(0)
	v_cmp_lt_f32_e32 vcc, v1, v3
	s_and_saveexec_b64 s[0:1], vcc
	s_cbranch_execz .LBB0_2
; %bb.1:
	global_load_dwordx3 v[8:10], v[4:5], off
	global_load_dwordx3 v[11:13], v[6:7], off
	v_lshl_add_u32 v0, v0, 12, v2
	v_mov_b32_e32 v2, s3
	s_waitcnt vmcnt(1)
	v_max_f32_e32 v1, v8, v8
	s_waitcnt vmcnt(0)
	v_max_f32_e32 v3, v11, v11
	v_add_f32_e32 v4, v8, v10
	v_add_f32_e32 v5, v10, v9
	v_add_f32_e32 v6, 1.0, v13
	v_add_f32_e32 v7, v13, v11
	v_add_f32_e32 v8, v13, v12
	v_max_f32_e32 v9, v9, v9
	v_max_f32_e32 v10, v12, v12
	;; [unrolled: 1-line block ×3, first 2 shown]
	v_mul_f32_e32 v3, v6, v6
	v_min_f32_e32 v4, v4, v7
	v_min_f32_e32 v5, v5, v8
	v_max_f32_e32 v6, v9, v10
	v_sub_f32_e32 v1, v4, v1
	v_sub_f32_e32 v4, v5, v6
	v_add_f32_e32 v1, 1.0, v1
	v_add_f32_e32 v4, 1.0, v4
	v_max_f32_e32 v1, 0, v1
	v_max_f32_e32 v4, 0, v4
	v_mul_f32_e32 v1, v1, v4
	v_div_scale_f32 v4, s[0:1], v3, v3, v1
	v_div_scale_f32 v5, vcc, v1, v3, v1
	s_load_dword s0, s[4:5], 0x10
	v_rcp_f32_e32 v6, v4
	v_fma_f32 v7, -v4, v6, 1.0
	v_fmac_f32_e32 v6, v7, v6
	v_mul_f32_e32 v7, v5, v6
	v_fma_f32 v8, -v4, v7, v5
	v_fmac_f32_e32 v7, v8, v6
	v_fma_f32 v4, -v4, v7, v5
	v_div_fmas_f32 v4, v4, v6, v7
	v_cmp_neq_f32_e32 vcc, 0, v13
	v_ashrrev_i32_e32 v5, 31, v0
	v_div_fixup_f32 v1, v4, v3, v1
	s_waitcnt lgkmcnt(0)
	v_cmp_gt_f32_e64 s[0:1], s0, v1
	s_and_b64 s[0:1], s[0:1], vcc
	v_add_co_u32_e32 v0, vcc, s2, v0
	v_cndmask_b32_e64 v3, 0, 1, s[0:1]
	v_addc_co_u32_e32 v1, vcc, v2, v5, vcc
	global_store_byte v[0:1], v3, off
.LBB0_2:
	s_endpgm
	.section	.rodata,"a",@progbits
	.p2align	6, 0x0
	.amdhsa_kernel _Z19generate_nms_bitmapPK15HIP_vector_typeIfLj4EEPhf
		.amdhsa_group_segment_fixed_size 0
		.amdhsa_private_segment_fixed_size 0
		.amdhsa_kernarg_size 280
		.amdhsa_user_sgpr_count 6
		.amdhsa_user_sgpr_private_segment_buffer 1
		.amdhsa_user_sgpr_dispatch_ptr 0
		.amdhsa_user_sgpr_queue_ptr 0
		.amdhsa_user_sgpr_kernarg_segment_ptr 1
		.amdhsa_user_sgpr_dispatch_id 0
		.amdhsa_user_sgpr_flat_scratch_init 0
		.amdhsa_user_sgpr_private_segment_size 0
		.amdhsa_uses_dynamic_stack 0
		.amdhsa_system_sgpr_private_segment_wavefront_offset 0
		.amdhsa_system_sgpr_workgroup_id_x 1
		.amdhsa_system_sgpr_workgroup_id_y 1
		.amdhsa_system_sgpr_workgroup_id_z 0
		.amdhsa_system_sgpr_workgroup_info 0
		.amdhsa_system_vgpr_workitem_id 1
		.amdhsa_next_free_vgpr 14
		.amdhsa_next_free_sgpr 10
		.amdhsa_reserve_vcc 1
		.amdhsa_reserve_flat_scratch 0
		.amdhsa_float_round_mode_32 0
		.amdhsa_float_round_mode_16_64 0
		.amdhsa_float_denorm_mode_32 3
		.amdhsa_float_denorm_mode_16_64 3
		.amdhsa_dx10_clamp 1
		.amdhsa_ieee_mode 1
		.amdhsa_fp16_overflow 0
		.amdhsa_exception_fp_ieee_invalid_op 0
		.amdhsa_exception_fp_denorm_src 0
		.amdhsa_exception_fp_ieee_div_zero 0
		.amdhsa_exception_fp_ieee_overflow 0
		.amdhsa_exception_fp_ieee_underflow 0
		.amdhsa_exception_fp_ieee_inexact 0
		.amdhsa_exception_int_div_zero 0
	.end_amdhsa_kernel
	.text
.Lfunc_end0:
	.size	_Z19generate_nms_bitmapPK15HIP_vector_typeIfLj4EEPhf, .Lfunc_end0-_Z19generate_nms_bitmapPK15HIP_vector_typeIfLj4EEPhf
                                        ; -- End function
	.set _Z19generate_nms_bitmapPK15HIP_vector_typeIfLj4EEPhf.num_vgpr, 14
	.set _Z19generate_nms_bitmapPK15HIP_vector_typeIfLj4EEPhf.num_agpr, 0
	.set _Z19generate_nms_bitmapPK15HIP_vector_typeIfLj4EEPhf.numbered_sgpr, 10
	.set _Z19generate_nms_bitmapPK15HIP_vector_typeIfLj4EEPhf.num_named_barrier, 0
	.set _Z19generate_nms_bitmapPK15HIP_vector_typeIfLj4EEPhf.private_seg_size, 0
	.set _Z19generate_nms_bitmapPK15HIP_vector_typeIfLj4EEPhf.uses_vcc, 1
	.set _Z19generate_nms_bitmapPK15HIP_vector_typeIfLj4EEPhf.uses_flat_scratch, 0
	.set _Z19generate_nms_bitmapPK15HIP_vector_typeIfLj4EEPhf.has_dyn_sized_stack, 0
	.set _Z19generate_nms_bitmapPK15HIP_vector_typeIfLj4EEPhf.has_recursion, 0
	.set _Z19generate_nms_bitmapPK15HIP_vector_typeIfLj4EEPhf.has_indirect_call, 0
	.section	.AMDGPU.csdata,"",@progbits
; Kernel info:
; codeLenInByte = 376
; TotalNumSgprs: 14
; NumVgprs: 14
; ScratchSize: 0
; MemoryBound: 0
; FloatMode: 240
; IeeeMode: 1
; LDSByteSize: 0 bytes/workgroup (compile time only)
; SGPRBlocks: 1
; VGPRBlocks: 3
; NumSGPRsForWavesPerEU: 14
; NumVGPRsForWavesPerEU: 14
; Occupancy: 10
; WaveLimiterHint : 0
; COMPUTE_PGM_RSRC2:SCRATCH_EN: 0
; COMPUTE_PGM_RSRC2:USER_SGPR: 6
; COMPUTE_PGM_RSRC2:TRAP_HANDLER: 0
; COMPUTE_PGM_RSRC2:TGID_X_EN: 1
; COMPUTE_PGM_RSRC2:TGID_Y_EN: 1
; COMPUTE_PGM_RSRC2:TGID_Z_EN: 0
; COMPUTE_PGM_RSRC2:TIDIG_COMP_CNT: 1
	.text
	.protected	_Z17reduce_nms_bitmapPhS_i ; -- Begin function _Z17reduce_nms_bitmapPhS_i
	.globl	_Z17reduce_nms_bitmapPhS_i
	.p2align	8
	.type	_Z17reduce_nms_bitmapPhS_i,@function
_Z17reduce_nms_bitmapPhS_i:             ; @_Z17reduce_nms_bitmapPhS_i
; %bb.0:
	s_load_dwordx4 s[0:3], s[4:5], 0x0
	s_load_dwordx2 s[8:9], s[4:5], 0x24
	v_lshl_or_b32 v3, s6, 12, v0
	v_ashrrev_i32_e32 v4, 31, v3
	v_mov_b32_e32 v7, -1
	s_waitcnt lgkmcnt(0)
	v_mov_b32_e32 v5, s1
	v_add_co_u32_e32 v3, vcc, s0, v3
	v_addc_co_u32_e32 v4, vcc, v5, v4, vcc
	global_load_ubyte v5, v[3:4], off
	s_lshr_b32 s1, s8, 16
	v_mad_u32_u24 v6, v2, s1, v1
	s_and_b32 s4, s8, 0xffff
	s_mul_i32 s5, s1, s4
	s_and_b32 s0, s9, 0xffff
	s_bfe_i32 s1, s5, 0x180000
	s_mul_i32 s0, s1, s0
	s_add_i32 s0, s0, 63
	s_bitcmp1_b32 exec_hi, 0
	s_waitcnt vmcnt(0)
	v_cmp_ne_u16_e32 vcc, 0, v5
	v_cndmask_b32_e64 v1, 0, 1, vcc
	v_mbcnt_lo_u32_b32 v5, -1, 0
	s_nop 0
	v_and_b32_dpp v1, v1, v1 row_shl:1 row_mask:0xf bank_mask:0xf
	s_nop 1
	v_and_b32_dpp v1, v1, v1 row_shl:2 row_mask:0xf bank_mask:0xf
	;; [unrolled: 2-line block ×4, first 2 shown]
	s_nop 1
	v_mov_b32_dpp v7, v1 wave_shl:1 row_mask:0xf bank_mask:0xf
	s_nop 1
	v_and_b32_dpp v1, v7, v1 row_mirror row_mask:0xf bank_mask:0xf
	v_readlane_b32 s1, v1, 32
	v_readlane_b32 s5, v1, 0
	s_cselect_b32 s1, s1, -1
	s_andn2_b32 s0, s0, 63
	s_and_b32 s5, s1, s5
	s_cmp_lg_u32 s0, 64
	s_cselect_b64 s[8:9], -1, 0
	s_and_b64 vcc, exec, s[8:9]
	s_cbranch_vccz .LBB1_7
; %bb.1:
	v_mad_u64_u32 v[1:2], s[0:1], v6, s4, v[0:1]
	v_mbcnt_hi_u32_b32 v7, -1, v5
	v_lshrrev_b32_e32 v2, 6, v1
	v_or_b32_e32 v8, v7, v2
	v_cmp_eq_u32_e32 vcc, 0, v8
	s_and_saveexec_b64 s[0:1], vcc
; %bb.2:
	v_mov_b32_e32 v8, 0
	v_mov_b32_e32 v9, s5
	ds_write_b32 v8, v9
; %bb.3:
	s_or_b64 exec, exec, s[0:1]
	v_cmp_eq_u32_e32 vcc, 0, v7
	v_cmp_lt_u32_e64 s[0:1], 63, v1
	s_and_b64 s[10:11], s[0:1], vcc
	s_waitcnt lgkmcnt(0)
	s_barrier
	s_and_saveexec_b64 s[0:1], s[10:11]
	s_cbranch_execz .LBB1_6
; %bb.4:
	v_mbcnt_lo_u32_b32 v7, exec_lo, 0
	v_mbcnt_hi_u32_b32 v7, exec_hi, v7
	v_cmp_eq_u32_e32 vcc, 0, v7
	s_and_b64 exec, exec, vcc
; %bb.5:
	v_mov_b32_e32 v7, 0
	v_mov_b32_e32 v8, s5
	ds_and_b32 v7, v8
.LBB1_6:
	s_or_b64 exec, exec, s[0:1]
	v_mov_b32_e32 v7, 0
	s_waitcnt lgkmcnt(0)
	s_barrier
	ds_read_b32 v7, v7
	s_waitcnt lgkmcnt(0)
	s_barrier
	s_branch .LBB1_9
.LBB1_7:
                                        ; implicit-def: $vgpr7
                                        ; implicit-def: $vgpr1
                                        ; implicit-def: $vgpr2
	s_cbranch_execz .LBB1_9
; %bb.8:
	v_mad_u64_u32 v[1:2], s[0:1], v6, s4, v[0:1]
	v_mov_b32_e32 v7, s5
	v_lshrrev_b32_e32 v2, 6, v1
.LBB1_9:
	v_mov_b32_e32 v0, s6
	s_add_u32 s4, s2, s6
	global_store_byte v0, v7, s[2:3]
	v_cmp_lt_u32_e64 s[0:1], 63, v1
	v_cndmask_b32_e64 v0, 0, 1, s[8:9]
	v_mbcnt_hi_u32_b32 v1, -1, v5
	s_addc_u32 s5, s3, 0
	s_mov_b64 s[6:7], 0x80
	v_cmp_ne_u32_e64 s[2:3], 1, v0
	v_mov_b32_e32 v0, 0
	v_or_b32_e32 v2, v1, v2
	s_branch .LBB1_12
.LBB1_10:                               ;   in Loop: Header=BB1_12 Depth=1
	s_or_b64 exec, exec, s[8:9]
	s_waitcnt lgkmcnt(0)
	s_barrier
	ds_read_b32 v7, v0
	s_waitcnt lgkmcnt(0)
	s_barrier
.LBB1_11:                               ;   in Loop: Header=BB1_12 Depth=1
	s_add_u32 s6, s6, 0x80
	s_addc_u32 s7, s7, 0
	s_cmpk_eq_i32 s6, 0x1000
	global_store_byte v0, v7, s[4:5]
	s_cbranch_scc1 .LBB1_21
.LBB1_12:                               ; =>This Inner Loop Header: Depth=1
	v_cmp_eq_u32_sdwa s[8:9], v7, v0 src0_sel:BYTE_0 src1_sel:DWORD
	s_and_b64 vcc, exec, s[8:9]
	s_cbranch_vccnz .LBB1_14
; %bb.13:                               ;   in Loop: Header=BB1_12 Depth=1
	v_mov_b32_e32 v6, s7
	v_add_co_u32_e32 v5, vcc, s6, v3
	v_addc_co_u32_e32 v6, vcc, v4, v6, vcc
	global_load_ubyte v5, v[5:6], off
	s_waitcnt vmcnt(0)
	v_cmp_ne_u16_e32 vcc, 0, v5
	v_cndmask_b32_e64 v5, 0, 1, vcc
	s_branch .LBB1_15
.LBB1_14:                               ;   in Loop: Header=BB1_12 Depth=1
	v_mov_b32_e32 v5, 0
.LBB1_15:                               ;   in Loop: Header=BB1_12 Depth=1
	s_nop 1
	v_and_b32_dpp v5, v5, v5 row_shl:1 row_mask:0xf bank_mask:0xf
	v_mov_b32_e32 v6, -1
	s_bitcmp1_b32 exec_hi, 0
	v_and_b32_dpp v5, v5, v5 row_shl:2 row_mask:0xf bank_mask:0xf
	s_nop 1
	v_and_b32_dpp v5, v5, v5 row_shl:4 row_mask:0xf bank_mask:0xf
	s_nop 1
	;; [unrolled: 2-line block ×3, first 2 shown]
	v_mov_b32_dpp v6, v5 wave_shl:1 row_mask:0xf bank_mask:0xf
	s_nop 1
	v_and_b32_dpp v5, v6, v5 row_mirror row_mask:0xf bank_mask:0xf
	v_readlane_b32 s8, v5, 32
	s_cselect_b32 s8, s8, -1
	v_readlane_b32 s9, v5, 0
	s_and_b32 s10, s8, s9
	s_and_b64 vcc, exec, s[2:3]
	v_mov_b32_e32 v7, s10
	s_cbranch_vccnz .LBB1_11
; %bb.16:                               ;   in Loop: Header=BB1_12 Depth=1
	v_cmp_eq_u32_e32 vcc, 0, v2
	s_and_saveexec_b64 s[8:9], vcc
; %bb.17:                               ;   in Loop: Header=BB1_12 Depth=1
	v_mov_b32_e32 v5, s10
	ds_write_b32 v0, v5
; %bb.18:                               ;   in Loop: Header=BB1_12 Depth=1
	s_or_b64 exec, exec, s[8:9]
	v_cmp_eq_u32_e32 vcc, 0, v1
	s_and_b64 s[12:13], s[0:1], vcc
	s_waitcnt vmcnt(0) lgkmcnt(0)
	s_barrier
	s_and_saveexec_b64 s[8:9], s[12:13]
	s_cbranch_execz .LBB1_10
; %bb.19:                               ;   in Loop: Header=BB1_12 Depth=1
	v_mbcnt_lo_u32_b32 v5, exec_lo, 0
	v_mbcnt_hi_u32_b32 v5, exec_hi, v5
	v_cmp_eq_u32_e32 vcc, 0, v5
	s_and_b64 exec, exec, vcc
	s_cbranch_execz .LBB1_10
; %bb.20:                               ;   in Loop: Header=BB1_12 Depth=1
	v_mov_b32_e32 v5, s10
	ds_and_b32 v0, v5
	s_branch .LBB1_10
.LBB1_21:
	s_endpgm
	.section	.rodata,"a",@progbits
	.p2align	6, 0x0
	.amdhsa_kernel _Z17reduce_nms_bitmapPhS_i
		.amdhsa_group_segment_fixed_size 256
		.amdhsa_private_segment_fixed_size 0
		.amdhsa_kernarg_size 280
		.amdhsa_user_sgpr_count 6
		.amdhsa_user_sgpr_private_segment_buffer 1
		.amdhsa_user_sgpr_dispatch_ptr 0
		.amdhsa_user_sgpr_queue_ptr 0
		.amdhsa_user_sgpr_kernarg_segment_ptr 1
		.amdhsa_user_sgpr_dispatch_id 0
		.amdhsa_user_sgpr_flat_scratch_init 0
		.amdhsa_user_sgpr_private_segment_size 0
		.amdhsa_uses_dynamic_stack 0
		.amdhsa_system_sgpr_private_segment_wavefront_offset 0
		.amdhsa_system_sgpr_workgroup_id_x 1
		.amdhsa_system_sgpr_workgroup_id_y 0
		.amdhsa_system_sgpr_workgroup_id_z 0
		.amdhsa_system_sgpr_workgroup_info 0
		.amdhsa_system_vgpr_workitem_id 2
		.amdhsa_next_free_vgpr 10
		.amdhsa_next_free_sgpr 14
		.amdhsa_reserve_vcc 1
		.amdhsa_reserve_flat_scratch 0
		.amdhsa_float_round_mode_32 0
		.amdhsa_float_round_mode_16_64 0
		.amdhsa_float_denorm_mode_32 3
		.amdhsa_float_denorm_mode_16_64 3
		.amdhsa_dx10_clamp 1
		.amdhsa_ieee_mode 1
		.amdhsa_fp16_overflow 0
		.amdhsa_exception_fp_ieee_invalid_op 0
		.amdhsa_exception_fp_denorm_src 0
		.amdhsa_exception_fp_ieee_div_zero 0
		.amdhsa_exception_fp_ieee_overflow 0
		.amdhsa_exception_fp_ieee_underflow 0
		.amdhsa_exception_fp_ieee_inexact 0
		.amdhsa_exception_int_div_zero 0
	.end_amdhsa_kernel
	.text
.Lfunc_end1:
	.size	_Z17reduce_nms_bitmapPhS_i, .Lfunc_end1-_Z17reduce_nms_bitmapPhS_i
                                        ; -- End function
	.set _Z17reduce_nms_bitmapPhS_i.num_vgpr, 10
	.set _Z17reduce_nms_bitmapPhS_i.num_agpr, 0
	.set _Z17reduce_nms_bitmapPhS_i.numbered_sgpr, 14
	.set _Z17reduce_nms_bitmapPhS_i.num_named_barrier, 0
	.set _Z17reduce_nms_bitmapPhS_i.private_seg_size, 0
	.set _Z17reduce_nms_bitmapPhS_i.uses_vcc, 1
	.set _Z17reduce_nms_bitmapPhS_i.uses_flat_scratch, 0
	.set _Z17reduce_nms_bitmapPhS_i.has_dyn_sized_stack, 0
	.set _Z17reduce_nms_bitmapPhS_i.has_recursion, 0
	.set _Z17reduce_nms_bitmapPhS_i.has_indirect_call, 0
	.section	.AMDGPU.csdata,"",@progbits
; Kernel info:
; codeLenInByte = 824
; TotalNumSgprs: 18
; NumVgprs: 10
; ScratchSize: 0
; MemoryBound: 0
; FloatMode: 240
; IeeeMode: 1
; LDSByteSize: 256 bytes/workgroup (compile time only)
; SGPRBlocks: 2
; VGPRBlocks: 2
; NumSGPRsForWavesPerEU: 18
; NumVGPRsForWavesPerEU: 10
; Occupancy: 10
; WaveLimiterHint : 0
; COMPUTE_PGM_RSRC2:SCRATCH_EN: 0
; COMPUTE_PGM_RSRC2:USER_SGPR: 6
; COMPUTE_PGM_RSRC2:TRAP_HANDLER: 0
; COMPUTE_PGM_RSRC2:TGID_X_EN: 1
; COMPUTE_PGM_RSRC2:TGID_Y_EN: 0
; COMPUTE_PGM_RSRC2:TGID_Z_EN: 0
; COMPUTE_PGM_RSRC2:TIDIG_COMP_CNT: 2
	.section	.AMDGPU.gpr_maximums,"",@progbits
	.set amdgpu.max_num_vgpr, 0
	.set amdgpu.max_num_agpr, 0
	.set amdgpu.max_num_sgpr, 0
	.section	.AMDGPU.csdata,"",@progbits
	.type	__hip_cuid_2660cee7456298f7,@object ; @__hip_cuid_2660cee7456298f7
	.section	.bss,"aw",@nobits
	.globl	__hip_cuid_2660cee7456298f7
__hip_cuid_2660cee7456298f7:
	.byte	0                               ; 0x0
	.size	__hip_cuid_2660cee7456298f7, 1

	.ident	"AMD clang version 22.0.0git (https://github.com/RadeonOpenCompute/llvm-project roc-7.2.4 26084 f58b06dce1f9c15707c5f808fd002e18c2accf7e)"
	.section	".note.GNU-stack","",@progbits
	.addrsig
	.addrsig_sym __hip_cuid_2660cee7456298f7
	.amdgpu_metadata
---
amdhsa.kernels:
  - .args:
      - .address_space:  global
        .offset:         0
        .size:           8
        .value_kind:     global_buffer
      - .address_space:  global
        .offset:         8
        .size:           8
        .value_kind:     global_buffer
      - .offset:         16
        .size:           4
        .value_kind:     by_value
      - .offset:         24
        .size:           4
        .value_kind:     hidden_block_count_x
      - .offset:         28
        .size:           4
        .value_kind:     hidden_block_count_y
      - .offset:         32
        .size:           4
        .value_kind:     hidden_block_count_z
      - .offset:         36
        .size:           2
        .value_kind:     hidden_group_size_x
      - .offset:         38
        .size:           2
        .value_kind:     hidden_group_size_y
      - .offset:         40
        .size:           2
        .value_kind:     hidden_group_size_z
      - .offset:         42
        .size:           2
        .value_kind:     hidden_remainder_x
      - .offset:         44
        .size:           2
        .value_kind:     hidden_remainder_y
      - .offset:         46
        .size:           2
        .value_kind:     hidden_remainder_z
      - .offset:         64
        .size:           8
        .value_kind:     hidden_global_offset_x
      - .offset:         72
        .size:           8
        .value_kind:     hidden_global_offset_y
      - .offset:         80
        .size:           8
        .value_kind:     hidden_global_offset_z
      - .offset:         88
        .size:           2
        .value_kind:     hidden_grid_dims
    .group_segment_fixed_size: 0
    .kernarg_segment_align: 8
    .kernarg_segment_size: 280
    .language:       OpenCL C
    .language_version:
      - 2
      - 0
    .max_flat_workgroup_size: 1024
    .name:           _Z19generate_nms_bitmapPK15HIP_vector_typeIfLj4EEPhf
    .private_segment_fixed_size: 0
    .sgpr_count:     14
    .sgpr_spill_count: 0
    .symbol:         _Z19generate_nms_bitmapPK15HIP_vector_typeIfLj4EEPhf.kd
    .uniform_work_group_size: 1
    .uses_dynamic_stack: false
    .vgpr_count:     14
    .vgpr_spill_count: 0
    .wavefront_size: 64
  - .args:
      - .address_space:  global
        .offset:         0
        .size:           8
        .value_kind:     global_buffer
      - .address_space:  global
        .offset:         8
        .size:           8
        .value_kind:     global_buffer
      - .offset:         16
        .size:           4
        .value_kind:     by_value
      - .offset:         24
        .size:           4
        .value_kind:     hidden_block_count_x
      - .offset:         28
        .size:           4
        .value_kind:     hidden_block_count_y
      - .offset:         32
        .size:           4
        .value_kind:     hidden_block_count_z
      - .offset:         36
        .size:           2
        .value_kind:     hidden_group_size_x
      - .offset:         38
        .size:           2
        .value_kind:     hidden_group_size_y
      - .offset:         40
        .size:           2
        .value_kind:     hidden_group_size_z
      - .offset:         42
        .size:           2
        .value_kind:     hidden_remainder_x
      - .offset:         44
        .size:           2
        .value_kind:     hidden_remainder_y
      - .offset:         46
        .size:           2
        .value_kind:     hidden_remainder_z
      - .offset:         64
        .size:           8
        .value_kind:     hidden_global_offset_x
      - .offset:         72
        .size:           8
        .value_kind:     hidden_global_offset_y
      - .offset:         80
        .size:           8
        .value_kind:     hidden_global_offset_z
      - .offset:         88
        .size:           2
        .value_kind:     hidden_grid_dims
    .group_segment_fixed_size: 256
    .kernarg_segment_align: 8
    .kernarg_segment_size: 280
    .language:       OpenCL C
    .language_version:
      - 2
      - 0
    .max_flat_workgroup_size: 1024
    .name:           _Z17reduce_nms_bitmapPhS_i
    .private_segment_fixed_size: 0
    .sgpr_count:     18
    .sgpr_spill_count: 0
    .symbol:         _Z17reduce_nms_bitmapPhS_i.kd
    .uniform_work_group_size: 1
    .uses_dynamic_stack: false
    .vgpr_count:     10
    .vgpr_spill_count: 0
    .wavefront_size: 64
amdhsa.target:   amdgcn-amd-amdhsa--gfx906
amdhsa.version:
  - 1
  - 2
...

	.end_amdgpu_metadata
